;; amdgpu-corpus repo=ROCm/rocFFT kind=compiled arch=gfx1201 opt=O3
	.text
	.amdgcn_target "amdgcn-amd-amdhsa--gfx1201"
	.amdhsa_code_object_version 6
	.protected	fft_rtc_back_len90_factors_3_3_10_wgs_63_tpt_9_halfLds_dp_ip_CI_unitstride_sbrr_C2R_dirReg ; -- Begin function fft_rtc_back_len90_factors_3_3_10_wgs_63_tpt_9_halfLds_dp_ip_CI_unitstride_sbrr_C2R_dirReg
	.globl	fft_rtc_back_len90_factors_3_3_10_wgs_63_tpt_9_halfLds_dp_ip_CI_unitstride_sbrr_C2R_dirReg
	.p2align	8
	.type	fft_rtc_back_len90_factors_3_3_10_wgs_63_tpt_9_halfLds_dp_ip_CI_unitstride_sbrr_C2R_dirReg,@function
fft_rtc_back_len90_factors_3_3_10_wgs_63_tpt_9_halfLds_dp_ip_CI_unitstride_sbrr_C2R_dirReg: ; @fft_rtc_back_len90_factors_3_3_10_wgs_63_tpt_9_halfLds_dp_ip_CI_unitstride_sbrr_C2R_dirReg
; %bb.0:
	s_load_b128 s[4:7], s[0:1], 0x0
	v_mul_u32_u24_e32 v1, 0x1c72, v0
	s_clause 0x1
	s_load_b64 s[8:9], s[0:1], 0x50
	s_load_b64 s[10:11], s[0:1], 0x18
	v_mov_b32_e32 v5, 0
	v_lshrrev_b32_e32 v1, 16, v1
	s_delay_alu instid0(VALU_DEP_1) | instskip(SKIP_3) | instid1(VALU_DEP_1)
	v_mad_co_u64_u32 v[1:2], null, ttmp9, 7, v[1:2]
	v_mov_b32_e32 v3, 0
	v_mov_b32_e32 v4, 0
	;; [unrolled: 1-line block ×4, first 2 shown]
	s_wait_kmcnt 0x0
	v_cmp_lt_u64_e64 s2, s[6:7], 2
	v_mov_b32_e32 v9, v1
	s_delay_alu instid0(VALU_DEP_2)
	s_and_b32 vcc_lo, exec_lo, s2
	s_cbranch_vccnz .LBB0_8
; %bb.1:
	s_load_b64 s[2:3], s[0:1], 0x10
	v_dual_mov_b32 v3, 0 :: v_dual_mov_b32 v8, v2
	v_dual_mov_b32 v4, 0 :: v_dual_mov_b32 v7, v1
	s_add_nc_u64 s[12:13], s[10:11], 8
	s_mov_b64 s[14:15], 1
	s_wait_kmcnt 0x0
	s_add_nc_u64 s[16:17], s[2:3], 8
	s_mov_b32 s3, 0
.LBB0_2:                                ; =>This Inner Loop Header: Depth=1
	s_load_b64 s[18:19], s[16:17], 0x0
                                        ; implicit-def: $vgpr9_vgpr10
	s_mov_b32 s2, exec_lo
	s_wait_kmcnt 0x0
	v_or_b32_e32 v6, s19, v8
	s_delay_alu instid0(VALU_DEP_1)
	v_cmpx_ne_u64_e32 0, v[5:6]
	s_wait_alu 0xfffe
	s_xor_b32 s20, exec_lo, s2
	s_cbranch_execz .LBB0_4
; %bb.3:                                ;   in Loop: Header=BB0_2 Depth=1
	s_cvt_f32_u32 s2, s18
	s_cvt_f32_u32 s21, s19
	s_sub_nc_u64 s[24:25], 0, s[18:19]
	s_wait_alu 0xfffe
	s_delay_alu instid0(SALU_CYCLE_1) | instskip(SKIP_1) | instid1(SALU_CYCLE_2)
	s_fmamk_f32 s2, s21, 0x4f800000, s2
	s_wait_alu 0xfffe
	v_s_rcp_f32 s2, s2
	s_delay_alu instid0(TRANS32_DEP_1) | instskip(SKIP_1) | instid1(SALU_CYCLE_2)
	s_mul_f32 s2, s2, 0x5f7ffffc
	s_wait_alu 0xfffe
	s_mul_f32 s21, s2, 0x2f800000
	s_wait_alu 0xfffe
	s_delay_alu instid0(SALU_CYCLE_2) | instskip(SKIP_1) | instid1(SALU_CYCLE_2)
	s_trunc_f32 s21, s21
	s_wait_alu 0xfffe
	s_fmamk_f32 s2, s21, 0xcf800000, s2
	s_cvt_u32_f32 s23, s21
	s_wait_alu 0xfffe
	s_delay_alu instid0(SALU_CYCLE_1) | instskip(SKIP_1) | instid1(SALU_CYCLE_2)
	s_cvt_u32_f32 s22, s2
	s_wait_alu 0xfffe
	s_mul_u64 s[26:27], s[24:25], s[22:23]
	s_wait_alu 0xfffe
	s_mul_hi_u32 s29, s22, s27
	s_mul_i32 s28, s22, s27
	s_mul_hi_u32 s2, s22, s26
	s_mul_i32 s30, s23, s26
	s_wait_alu 0xfffe
	s_add_nc_u64 s[28:29], s[2:3], s[28:29]
	s_mul_hi_u32 s21, s23, s26
	s_mul_hi_u32 s31, s23, s27
	s_add_co_u32 s2, s28, s30
	s_wait_alu 0xfffe
	s_add_co_ci_u32 s2, s29, s21
	s_mul_i32 s26, s23, s27
	s_add_co_ci_u32 s27, s31, 0
	s_wait_alu 0xfffe
	s_add_nc_u64 s[26:27], s[2:3], s[26:27]
	s_wait_alu 0xfffe
	v_add_co_u32 v2, s2, s22, s26
	s_delay_alu instid0(VALU_DEP_1) | instskip(SKIP_1) | instid1(VALU_DEP_1)
	s_cmp_lg_u32 s2, 0
	s_add_co_ci_u32 s23, s23, s27
	v_readfirstlane_b32 s22, v2
	s_wait_alu 0xfffe
	s_delay_alu instid0(VALU_DEP_1)
	s_mul_u64 s[24:25], s[24:25], s[22:23]
	s_wait_alu 0xfffe
	s_mul_hi_u32 s27, s22, s25
	s_mul_i32 s26, s22, s25
	s_mul_hi_u32 s2, s22, s24
	s_mul_i32 s28, s23, s24
	s_wait_alu 0xfffe
	s_add_nc_u64 s[26:27], s[2:3], s[26:27]
	s_mul_hi_u32 s21, s23, s24
	s_mul_hi_u32 s22, s23, s25
	s_wait_alu 0xfffe
	s_add_co_u32 s2, s26, s28
	s_add_co_ci_u32 s2, s27, s21
	s_mul_i32 s24, s23, s25
	s_add_co_ci_u32 s25, s22, 0
	s_wait_alu 0xfffe
	s_add_nc_u64 s[24:25], s[2:3], s[24:25]
	s_wait_alu 0xfffe
	v_add_co_u32 v2, s2, v2, s24
	s_delay_alu instid0(VALU_DEP_1) | instskip(SKIP_1) | instid1(VALU_DEP_1)
	s_cmp_lg_u32 s2, 0
	s_add_co_ci_u32 s2, s23, s25
	v_mul_hi_u32 v6, v7, v2
	s_wait_alu 0xfffe
	v_mad_co_u64_u32 v[9:10], null, v7, s2, 0
	v_mad_co_u64_u32 v[11:12], null, v8, v2, 0
	;; [unrolled: 1-line block ×3, first 2 shown]
	s_delay_alu instid0(VALU_DEP_3) | instskip(SKIP_1) | instid1(VALU_DEP_4)
	v_add_co_u32 v2, vcc_lo, v6, v9
	s_wait_alu 0xfffd
	v_add_co_ci_u32_e32 v6, vcc_lo, 0, v10, vcc_lo
	s_delay_alu instid0(VALU_DEP_2) | instskip(SKIP_1) | instid1(VALU_DEP_2)
	v_add_co_u32 v2, vcc_lo, v2, v11
	s_wait_alu 0xfffd
	v_add_co_ci_u32_e32 v2, vcc_lo, v6, v12, vcc_lo
	s_wait_alu 0xfffd
	v_add_co_ci_u32_e32 v6, vcc_lo, 0, v14, vcc_lo
	s_delay_alu instid0(VALU_DEP_2) | instskip(SKIP_1) | instid1(VALU_DEP_2)
	v_add_co_u32 v2, vcc_lo, v2, v13
	s_wait_alu 0xfffd
	v_add_co_ci_u32_e32 v6, vcc_lo, 0, v6, vcc_lo
	s_delay_alu instid0(VALU_DEP_2) | instskip(SKIP_1) | instid1(VALU_DEP_3)
	v_mul_lo_u32 v11, s19, v2
	v_mad_co_u64_u32 v[9:10], null, s18, v2, 0
	v_mul_lo_u32 v12, s18, v6
	s_delay_alu instid0(VALU_DEP_2) | instskip(NEXT) | instid1(VALU_DEP_2)
	v_sub_co_u32 v9, vcc_lo, v7, v9
	v_add3_u32 v10, v10, v12, v11
	s_delay_alu instid0(VALU_DEP_1) | instskip(SKIP_1) | instid1(VALU_DEP_1)
	v_sub_nc_u32_e32 v11, v8, v10
	s_wait_alu 0xfffd
	v_subrev_co_ci_u32_e64 v11, s2, s19, v11, vcc_lo
	v_add_co_u32 v12, s2, v2, 2
	s_wait_alu 0xf1ff
	v_add_co_ci_u32_e64 v13, s2, 0, v6, s2
	v_sub_co_u32 v14, s2, v9, s18
	v_sub_co_ci_u32_e32 v10, vcc_lo, v8, v10, vcc_lo
	s_wait_alu 0xf1ff
	v_subrev_co_ci_u32_e64 v11, s2, 0, v11, s2
	s_delay_alu instid0(VALU_DEP_3) | instskip(NEXT) | instid1(VALU_DEP_3)
	v_cmp_le_u32_e32 vcc_lo, s18, v14
	v_cmp_eq_u32_e64 s2, s19, v10
	s_wait_alu 0xfffd
	v_cndmask_b32_e64 v14, 0, -1, vcc_lo
	v_cmp_le_u32_e32 vcc_lo, s19, v11
	s_wait_alu 0xfffd
	v_cndmask_b32_e64 v15, 0, -1, vcc_lo
	v_cmp_le_u32_e32 vcc_lo, s18, v9
	;; [unrolled: 3-line block ×3, first 2 shown]
	s_wait_alu 0xfffd
	v_cndmask_b32_e64 v16, 0, -1, vcc_lo
	v_cmp_eq_u32_e32 vcc_lo, s19, v11
	s_wait_alu 0xf1ff
	s_delay_alu instid0(VALU_DEP_2)
	v_cndmask_b32_e64 v9, v16, v9, s2
	s_wait_alu 0xfffd
	v_cndmask_b32_e32 v11, v15, v14, vcc_lo
	v_add_co_u32 v14, vcc_lo, v2, 1
	s_wait_alu 0xfffd
	v_add_co_ci_u32_e32 v15, vcc_lo, 0, v6, vcc_lo
	s_delay_alu instid0(VALU_DEP_3) | instskip(SKIP_1) | instid1(VALU_DEP_2)
	v_cmp_ne_u32_e32 vcc_lo, 0, v11
	s_wait_alu 0xfffd
	v_dual_cndmask_b32 v10, v15, v13 :: v_dual_cndmask_b32 v11, v14, v12
	v_cmp_ne_u32_e32 vcc_lo, 0, v9
	s_wait_alu 0xfffd
	s_delay_alu instid0(VALU_DEP_2) | instskip(NEXT) | instid1(VALU_DEP_3)
	v_cndmask_b32_e32 v10, v6, v10, vcc_lo
	v_cndmask_b32_e32 v9, v2, v11, vcc_lo
.LBB0_4:                                ;   in Loop: Header=BB0_2 Depth=1
	s_wait_alu 0xfffe
	s_and_not1_saveexec_b32 s2, s20
	s_cbranch_execz .LBB0_6
; %bb.5:                                ;   in Loop: Header=BB0_2 Depth=1
	v_cvt_f32_u32_e32 v2, s18
	s_sub_co_i32 s20, 0, s18
	s_delay_alu instid0(VALU_DEP_1) | instskip(NEXT) | instid1(TRANS32_DEP_1)
	v_rcp_iflag_f32_e32 v2, v2
	v_mul_f32_e32 v2, 0x4f7ffffe, v2
	s_delay_alu instid0(VALU_DEP_1) | instskip(SKIP_1) | instid1(VALU_DEP_1)
	v_cvt_u32_f32_e32 v2, v2
	s_wait_alu 0xfffe
	v_mul_lo_u32 v6, s20, v2
	s_delay_alu instid0(VALU_DEP_1) | instskip(NEXT) | instid1(VALU_DEP_1)
	v_mul_hi_u32 v6, v2, v6
	v_add_nc_u32_e32 v2, v2, v6
	s_delay_alu instid0(VALU_DEP_1) | instskip(NEXT) | instid1(VALU_DEP_1)
	v_mul_hi_u32 v2, v7, v2
	v_mul_lo_u32 v6, v2, s18
	v_add_nc_u32_e32 v9, 1, v2
	s_delay_alu instid0(VALU_DEP_2) | instskip(NEXT) | instid1(VALU_DEP_1)
	v_sub_nc_u32_e32 v6, v7, v6
	v_subrev_nc_u32_e32 v10, s18, v6
	v_cmp_le_u32_e32 vcc_lo, s18, v6
	s_wait_alu 0xfffd
	s_delay_alu instid0(VALU_DEP_2) | instskip(SKIP_2) | instid1(VALU_DEP_3)
	v_cndmask_b32_e32 v6, v6, v10, vcc_lo
	v_mov_b32_e32 v10, v5
	v_cndmask_b32_e32 v2, v2, v9, vcc_lo
	v_cmp_le_u32_e32 vcc_lo, s18, v6
	s_delay_alu instid0(VALU_DEP_2) | instskip(SKIP_1) | instid1(VALU_DEP_1)
	v_add_nc_u32_e32 v9, 1, v2
	s_wait_alu 0xfffd
	v_cndmask_b32_e32 v9, v2, v9, vcc_lo
.LBB0_6:                                ;   in Loop: Header=BB0_2 Depth=1
	s_wait_alu 0xfffe
	s_or_b32 exec_lo, exec_lo, s2
	s_load_b64 s[20:21], s[12:13], 0x0
	v_mul_lo_u32 v2, v10, s18
	v_mul_lo_u32 v6, v9, s19
	v_mad_co_u64_u32 v[11:12], null, v9, s18, 0
	s_add_nc_u64 s[14:15], s[14:15], 1
	s_add_nc_u64 s[12:13], s[12:13], 8
	s_wait_alu 0xfffe
	v_cmp_ge_u64_e64 s2, s[14:15], s[6:7]
	s_add_nc_u64 s[16:17], s[16:17], 8
	s_delay_alu instid0(VALU_DEP_2) | instskip(NEXT) | instid1(VALU_DEP_3)
	v_add3_u32 v2, v12, v6, v2
	v_sub_co_u32 v6, vcc_lo, v7, v11
	s_wait_alu 0xfffd
	s_delay_alu instid0(VALU_DEP_2) | instskip(SKIP_3) | instid1(VALU_DEP_2)
	v_sub_co_ci_u32_e32 v2, vcc_lo, v8, v2, vcc_lo
	s_and_b32 vcc_lo, exec_lo, s2
	s_wait_kmcnt 0x0
	v_mul_lo_u32 v7, s21, v6
	v_mul_lo_u32 v2, s20, v2
	v_mad_co_u64_u32 v[3:4], null, s20, v6, v[3:4]
	s_delay_alu instid0(VALU_DEP_1)
	v_add3_u32 v4, v7, v4, v2
	s_wait_alu 0xfffe
	s_cbranch_vccnz .LBB0_8
; %bb.7:                                ;   in Loop: Header=BB0_2 Depth=1
	v_dual_mov_b32 v7, v9 :: v_dual_mov_b32 v8, v10
	s_branch .LBB0_2
.LBB0_8:
	v_mul_hi_u32 v2, 0x24924925, v1
	s_lshl_b64 s[2:3], s[6:7], 3
	s_load_b64 s[0:1], s[0:1], 0x20
	s_add_nc_u64 s[2:3], s[10:11], s[2:3]
	v_mul_hi_u32 v8, 0x1c71c71d, v0
	s_load_b64 s[2:3], s[2:3], 0x0
	s_delay_alu instid0(VALU_DEP_2) | instskip(NEXT) | instid1(VALU_DEP_1)
	v_sub_nc_u32_e32 v5, v1, v2
	v_lshrrev_b32_e32 v5, 1, v5
	s_delay_alu instid0(VALU_DEP_1) | instskip(SKIP_2) | instid1(VALU_DEP_2)
	v_add_nc_u32_e32 v2, v5, v2
	s_wait_kmcnt 0x0
	v_cmp_gt_u64_e32 vcc_lo, s[0:1], v[9:10]
	v_lshrrev_b32_e32 v2, 2, v2
	v_mul_lo_u32 v5, s2, v10
	v_mul_lo_u32 v7, s3, v9
	s_delay_alu instid0(VALU_DEP_3) | instskip(SKIP_2) | instid1(VALU_DEP_1)
	v_mul_lo_u32 v6, v2, 7
	v_mad_co_u64_u32 v[2:3], null, s2, v9, v[3:4]
	v_mul_u32_u24_e32 v4, 9, v8
	v_sub_nc_u32_e32 v48, v0, v4
	s_delay_alu instid0(VALU_DEP_4) | instskip(NEXT) | instid1(VALU_DEP_4)
	v_sub_nc_u32_e32 v1, v1, v6
	v_add3_u32 v3, v7, v3, v5
	s_delay_alu instid0(VALU_DEP_2) | instskip(NEXT) | instid1(VALU_DEP_2)
	v_mul_u32_u24_e32 v12, 0x5b, v1
	v_lshlrev_b64_e32 v[50:51], 4, v[2:3]
	s_delay_alu instid0(VALU_DEP_2)
	v_lshlrev_b32_e32 v54, 4, v12
	s_and_saveexec_b32 s1, vcc_lo
	s_cbranch_execz .LBB0_12
; %bb.9:
	v_mov_b32_e32 v49, 0
	s_delay_alu instid0(VALU_DEP_3) | instskip(SKIP_2) | instid1(VALU_DEP_3)
	v_add_co_u32 v0, s0, s8, v50
	s_wait_alu 0xf1ff
	v_add_co_ci_u32_e64 v1, s0, s9, v51, s0
	v_lshlrev_b64_e32 v[2:3], 4, v[48:49]
	s_mov_b32 s2, exec_lo
	s_delay_alu instid0(VALU_DEP_1) | instskip(SKIP_2) | instid1(VALU_DEP_3)
	v_add_co_u32 v41, s0, v0, v2
	v_lshlrev_b32_e32 v2, 4, v48
	s_wait_alu 0xf1ff
	v_add_co_ci_u32_e64 v42, s0, v1, v3, s0
	s_clause 0x9
	global_load_b128 v[3:6], v[41:42], off
	global_load_b128 v[7:10], v[41:42], off offset:144
	global_load_b128 v[13:16], v[41:42], off offset:288
	;; [unrolled: 1-line block ×9, first 2 shown]
	v_add3_u32 v2, 0, v54, v2
	s_wait_loadcnt 0x9
	ds_store_b128 v2, v[3:6]
	s_wait_loadcnt 0x8
	ds_store_b128 v2, v[7:10] offset:144
	s_wait_loadcnt 0x7
	ds_store_b128 v2, v[13:16] offset:288
	s_wait_loadcnt 0x6
	ds_store_b128 v2, v[17:20] offset:432
	s_wait_loadcnt 0x5
	ds_store_b128 v2, v[21:24] offset:576
	s_wait_loadcnt 0x4
	ds_store_b128 v2, v[25:28] offset:720
	s_wait_loadcnt 0x3
	ds_store_b128 v2, v[29:32] offset:864
	s_wait_loadcnt 0x2
	ds_store_b128 v2, v[33:36] offset:1008
	s_wait_loadcnt 0x1
	ds_store_b128 v2, v[37:40] offset:1152
	s_wait_loadcnt 0x0
	ds_store_b128 v2, v[41:44] offset:1296
	v_cmpx_eq_u32_e32 8, v48
	s_cbranch_execz .LBB0_11
; %bb.10:
	global_load_b128 v[3:6], v[0:1], off offset:1440
	v_mov_b32_e32 v48, 8
	s_wait_loadcnt 0x0
	ds_store_b128 v2, v[3:6] offset:1312
.LBB0_11:
	s_wait_alu 0xfffe
	s_or_b32 exec_lo, exec_lo, s2
.LBB0_12:
	s_wait_alu 0xfffe
	s_or_b32 exec_lo, exec_lo, s1
	v_lshl_add_u32 v52, v12, 4, 0
	v_lshlrev_b32_e32 v0, 4, v48
	global_wb scope:SCOPE_SE
	s_wait_dscnt 0x0
	s_barrier_signal -1
	s_barrier_wait -1
	global_inv scope:SCOPE_SE
	v_add_nc_u32_e32 v53, v52, v0
	v_sub_nc_u32_e32 v10, v52, v0
	s_mov_b32 s1, exec_lo
                                        ; implicit-def: $vgpr4_vgpr5
	ds_load_b64 v[6:7], v53
	ds_load_b64 v[8:9], v10 offset:1440
	s_wait_dscnt 0x0
	v_add_f64_e32 v[0:1], v[6:7], v[8:9]
	v_add_f64_e64 v[2:3], v[6:7], -v[8:9]
	v_cmpx_ne_u32_e32 0, v48
	s_wait_alu 0xfffe
	s_xor_b32 s1, exec_lo, s1
	s_cbranch_execz .LBB0_14
; %bb.13:
	v_mov_b32_e32 v49, 0
	v_add_f64_e32 v[15:16], v[6:7], v[8:9]
	v_add_f64_e64 v[17:18], v[6:7], -v[8:9]
	s_delay_alu instid0(VALU_DEP_3) | instskip(NEXT) | instid1(VALU_DEP_1)
	v_lshlrev_b64_e32 v[0:1], 4, v[48:49]
	v_add_co_u32 v0, s0, s4, v0
	s_wait_alu 0xf1ff
	s_delay_alu instid0(VALU_DEP_2)
	v_add_co_ci_u32_e64 v1, s0, s5, v1, s0
	global_load_b128 v[2:5], v[0:1], off offset:1392
	ds_load_b64 v[0:1], v10 offset:1448
	ds_load_b64 v[13:14], v53 offset:8
	s_wait_dscnt 0x0
	v_add_f64_e32 v[6:7], v[0:1], v[13:14]
	v_add_f64_e64 v[0:1], v[13:14], -v[0:1]
	s_wait_loadcnt 0x0
	v_fma_f64 v[8:9], v[17:18], v[4:5], v[15:16]
	v_fma_f64 v[13:14], -v[17:18], v[4:5], v[15:16]
	s_delay_alu instid0(VALU_DEP_3) | instskip(SKIP_1) | instid1(VALU_DEP_4)
	v_fma_f64 v[15:16], v[6:7], v[4:5], -v[0:1]
	v_fma_f64 v[4:5], v[6:7], v[4:5], v[0:1]
	v_fma_f64 v[0:1], -v[6:7], v[2:3], v[8:9]
	s_delay_alu instid0(VALU_DEP_4) | instskip(NEXT) | instid1(VALU_DEP_4)
	v_fma_f64 v[6:7], v[6:7], v[2:3], v[13:14]
	v_fma_f64 v[8:9], v[17:18], v[2:3], v[15:16]
	s_delay_alu instid0(VALU_DEP_4)
	v_fma_f64 v[2:3], v[17:18], v[2:3], v[4:5]
	v_dual_mov_b32 v4, v48 :: v_dual_mov_b32 v5, v49
	ds_store_b128 v10, v[6:9] offset:1440
.LBB0_14:
	s_wait_alu 0xfffe
	s_and_not1_saveexec_b32 s0, s1
	s_cbranch_execz .LBB0_16
; %bb.15:
	ds_load_b128 v[4:7], v52 offset:720
	s_wait_dscnt 0x0
	v_add_f64_e32 v[13:14], v[4:5], v[4:5]
	v_mul_f64_e32 v[15:16], -2.0, v[6:7]
	v_mov_b32_e32 v4, 0
	v_mov_b32_e32 v5, 0
	ds_store_b128 v52, v[13:16] offset:720
.LBB0_16:
	s_wait_alu 0xfffe
	s_or_b32 exec_lo, exec_lo, s0
	v_lshlrev_b64_e32 v[4:5], 4, v[4:5]
	s_add_nc_u64 s[0:1], s[4:5], 0x570
	v_lshl_add_u32 v47, v48, 4, 0
	s_mov_b32 s3, 0x3febb67a
	s_wait_alu 0xfffe
	s_delay_alu instid0(VALU_DEP_2)
	v_add_co_u32 v25, s0, s0, v4
	s_wait_alu 0xf1ff
	v_add_co_ci_u32_e64 v26, s0, s1, v5, s0
	v_add_nc_u32_e32 v49, v47, v54
	s_mov_b32 s0, 0xe8584caa
	s_mov_b32 s1, 0xbfebb67a
	s_clause 0x1
	global_load_b128 v[4:7], v[25:26], off offset:144
	global_load_b128 v[13:16], v[25:26], off offset:288
	ds_store_b128 v53, v[0:3]
	ds_load_b128 v[0:3], v53 offset:144
	ds_load_b128 v[17:20], v10 offset:1296
	global_load_b128 v[21:24], v[25:26], off offset:432
	s_wait_alu 0xfffe
	s_mov_b32 s2, s0
	s_wait_dscnt 0x0
	v_add_f64_e32 v[8:9], v[0:1], v[17:18]
	v_add_f64_e32 v[27:28], v[19:20], v[2:3]
	v_add_f64_e64 v[17:18], v[0:1], -v[17:18]
	v_add_f64_e64 v[0:1], v[2:3], -v[19:20]
	s_wait_loadcnt 0x2
	s_delay_alu instid0(VALU_DEP_2) | instskip(NEXT) | instid1(VALU_DEP_2)
	v_fma_f64 v[2:3], v[17:18], v[6:7], v[8:9]
	v_fma_f64 v[19:20], v[27:28], v[6:7], v[0:1]
	v_fma_f64 v[8:9], -v[17:18], v[6:7], v[8:9]
	v_fma_f64 v[29:30], v[27:28], v[6:7], -v[0:1]
	s_delay_alu instid0(VALU_DEP_4) | instskip(NEXT) | instid1(VALU_DEP_4)
	v_fma_f64 v[0:1], -v[27:28], v[4:5], v[2:3]
	v_fma_f64 v[2:3], v[17:18], v[4:5], v[19:20]
	s_delay_alu instid0(VALU_DEP_4) | instskip(NEXT) | instid1(VALU_DEP_4)
	v_fma_f64 v[6:7], v[27:28], v[4:5], v[8:9]
	v_fma_f64 v[8:9], v[17:18], v[4:5], v[29:30]
	ds_store_b128 v53, v[0:3] offset:144
	ds_store_b128 v10, v[6:9] offset:1296
	ds_load_b128 v[0:3], v53 offset:288
	ds_load_b128 v[4:7], v10 offset:1152
	global_load_b128 v[17:20], v[25:26], off offset:576
	s_wait_dscnt 0x0
	v_add_f64_e32 v[8:9], v[0:1], v[4:5]
	v_add_f64_e32 v[25:26], v[6:7], v[2:3]
	v_add_f64_e64 v[27:28], v[0:1], -v[4:5]
	v_add_f64_e64 v[0:1], v[2:3], -v[6:7]
	s_wait_loadcnt 0x2
	s_delay_alu instid0(VALU_DEP_2) | instskip(NEXT) | instid1(VALU_DEP_2)
	v_fma_f64 v[2:3], v[27:28], v[15:16], v[8:9]
	v_fma_f64 v[4:5], v[25:26], v[15:16], v[0:1]
	v_fma_f64 v[6:7], -v[27:28], v[15:16], v[8:9]
	v_fma_f64 v[8:9], v[25:26], v[15:16], -v[0:1]
	s_delay_alu instid0(VALU_DEP_4) | instskip(NEXT) | instid1(VALU_DEP_4)
	v_fma_f64 v[0:1], -v[25:26], v[13:14], v[2:3]
	v_fma_f64 v[2:3], v[27:28], v[13:14], v[4:5]
	s_delay_alu instid0(VALU_DEP_4) | instskip(NEXT) | instid1(VALU_DEP_4)
	v_fma_f64 v[4:5], v[25:26], v[13:14], v[6:7]
	v_fma_f64 v[6:7], v[27:28], v[13:14], v[8:9]
	v_xor_b32_e32 v8, 63, v48
	ds_store_b128 v53, v[0:3] offset:288
	ds_store_b128 v10, v[4:7] offset:1152
	v_lshl_add_u32 v11, v8, 4, v52
	ds_load_b128 v[0:3], v53 offset:432
	ds_load_b128 v[4:7], v11
	s_wait_dscnt 0x0
	v_add_f64_e32 v[8:9], v[0:1], v[4:5]
	v_add_f64_e32 v[13:14], v[6:7], v[2:3]
	v_add_f64_e64 v[15:16], v[0:1], -v[4:5]
	v_add_f64_e64 v[0:1], v[2:3], -v[6:7]
	s_wait_loadcnt 0x1
	s_delay_alu instid0(VALU_DEP_2) | instskip(NEXT) | instid1(VALU_DEP_2)
	v_fma_f64 v[2:3], v[15:16], v[23:24], v[8:9]
	v_fma_f64 v[4:5], v[13:14], v[23:24], v[0:1]
	v_fma_f64 v[6:7], -v[15:16], v[23:24], v[8:9]
	v_fma_f64 v[8:9], v[13:14], v[23:24], -v[0:1]
	s_delay_alu instid0(VALU_DEP_4) | instskip(NEXT) | instid1(VALU_DEP_4)
	v_fma_f64 v[0:1], -v[13:14], v[21:22], v[2:3]
	v_fma_f64 v[2:3], v[15:16], v[21:22], v[4:5]
	s_delay_alu instid0(VALU_DEP_4) | instskip(NEXT) | instid1(VALU_DEP_4)
	v_fma_f64 v[4:5], v[13:14], v[21:22], v[6:7]
	v_fma_f64 v[6:7], v[15:16], v[21:22], v[8:9]
	ds_store_b128 v53, v[0:3] offset:432
	ds_store_b128 v11, v[4:7]
	ds_load_b128 v[0:3], v53 offset:576
	ds_load_b128 v[4:7], v10 offset:864
	s_wait_dscnt 0x0
	v_add_f64_e32 v[8:9], v[0:1], v[4:5]
	v_add_f64_e32 v[13:14], v[6:7], v[2:3]
	v_add_f64_e64 v[15:16], v[0:1], -v[4:5]
	v_add_f64_e64 v[0:1], v[2:3], -v[6:7]
	s_wait_loadcnt 0x0
	s_delay_alu instid0(VALU_DEP_2) | instskip(NEXT) | instid1(VALU_DEP_2)
	v_fma_f64 v[2:3], v[15:16], v[19:20], v[8:9]
	v_fma_f64 v[4:5], v[13:14], v[19:20], v[0:1]
	v_fma_f64 v[6:7], -v[15:16], v[19:20], v[8:9]
	v_fma_f64 v[8:9], v[13:14], v[19:20], -v[0:1]
	s_delay_alu instid0(VALU_DEP_4) | instskip(NEXT) | instid1(VALU_DEP_4)
	v_fma_f64 v[0:1], -v[13:14], v[17:18], v[2:3]
	v_fma_f64 v[2:3], v[15:16], v[17:18], v[4:5]
	s_delay_alu instid0(VALU_DEP_4) | instskip(NEXT) | instid1(VALU_DEP_4)
	v_fma_f64 v[4:5], v[13:14], v[17:18], v[6:7]
	v_fma_f64 v[6:7], v[15:16], v[17:18], v[8:9]
	ds_store_b128 v53, v[0:3] offset:576
	ds_store_b128 v10, v[4:7] offset:864
	global_wb scope:SCOPE_SE
	s_wait_dscnt 0x0
	s_barrier_signal -1
	s_barrier_wait -1
	global_inv scope:SCOPE_SE
	global_wb scope:SCOPE_SE
	s_barrier_signal -1
	s_barrier_wait -1
	global_inv scope:SCOPE_SE
	ds_load_b128 v[0:3], v49 offset:960
	ds_load_b128 v[4:7], v49 offset:480
	;; [unrolled: 1-line block ×8, first 2 shown]
	ds_load_b128 v[33:36], v53
	ds_load_b128 v[37:40], v49 offset:144
	ds_load_b128 v[41:44], v49 offset:288
	;; [unrolled: 1-line block ×3, first 2 shown]
	global_wb scope:SCOPE_SE
	s_wait_dscnt 0x0
	s_barrier_signal -1
	s_barrier_wait -1
	global_inv scope:SCOPE_SE
	v_add_f64_e32 v[45:46], v[4:5], v[0:1]
	v_add_f64_e32 v[59:60], v[6:7], v[2:3]
	;; [unrolled: 1-line block ×9, first 2 shown]
	v_add_f64_e64 v[75:76], v[6:7], -v[2:3]
	v_add_f64_e32 v[6:7], v[35:36], v[6:7]
	v_add_f64_e32 v[77:78], v[37:38], v[8:9]
	;; [unrolled: 1-line block ×7, first 2 shown]
	v_add_f64_e64 v[4:5], v[4:5], -v[0:1]
	v_add_f64_e64 v[10:11], v[10:11], -v[15:16]
	;; [unrolled: 1-line block ×4, first 2 shown]
	v_fma_f64 v[33:34], v[45:46], -0.5, v[33:34]
	v_fma_f64 v[35:36], v[59:60], -0.5, v[35:36]
	;; [unrolled: 1-line block ×4, first 2 shown]
	v_add_f64_e64 v[61:62], v[23:24], -v[19:20]
	v_fma_f64 v[63:64], v[65:66], -0.5, v[41:42]
	v_fma_f64 v[55:56], v[69:70], -0.5, v[55:56]
	v_add_f64_e64 v[69:70], v[25:26], -v[29:30]
	v_fma_f64 v[57:58], v[71:72], -0.5, v[57:58]
	v_add_f64_e64 v[65:66], v[21:22], -v[17:18]
	v_fma_f64 v[67:68], v[67:68], -0.5, v[43:44]
	v_add_f64_e32 v[21:22], v[73:74], v[0:1]
	v_add_f64_e32 v[23:24], v[6:7], v[2:3]
	;; [unrolled: 1-line block ×8, first 2 shown]
	v_lshl_add_u32 v20, v48, 5, v47
	s_delay_alu instid0(VALU_DEP_1) | instskip(SKIP_1) | instid1(VALU_DEP_2)
	v_add_nc_u32_e32 v13, 0x360, v20
	v_add_nc_u32_e32 v20, v20, v54
	;; [unrolled: 1-line block ×3, first 2 shown]
	v_fma_f64 v[29:30], v[75:76], s[0:1], v[33:34]
	s_wait_alu 0xfffe
	v_fma_f64 v[31:32], v[4:5], s[2:3], v[35:36]
	v_fma_f64 v[35:36], v[4:5], s[0:1], v[35:36]
	;; [unrolled: 1-line block ×15, first 2 shown]
	v_cmp_gt_u32_e64 s0, 3, v48
	ds_store_b128 v47, v[14:17]
	ds_store_b128 v20, v[21:24]
	ds_store_b128 v20, v[29:32] offset:16
	ds_store_b128 v20, v[33:36] offset:32
	;; [unrolled: 1-line block ×5, first 2 shown]
	ds_store_2addr_b64 v47, v[18:19], v[59:60] offset0:2 offset1:3
	ds_store_2addr_b64 v47, v[45:46], v[61:62] offset0:4 offset1:5
	s_and_saveexec_b32 s1, s0
	s_cbranch_execz .LBB0_18
; %bb.17:
	v_lshl_add_u32 v12, v12, 4, v13
	ds_store_2addr_b64 v12, v[2:3], v[4:5] offset0:55 offset1:56
	ds_store_2addr_b64 v12, v[0:1], v[6:7] offset0:54 offset1:57
	;; [unrolled: 1-line block ×3, first 2 shown]
.LBB0_18:
	s_wait_alu 0xfffe
	s_or_b32 exec_lo, exec_lo, s1
	global_wb scope:SCOPE_SE
	s_wait_dscnt 0x0
	s_barrier_signal -1
	s_barrier_wait -1
	global_inv scope:SCOPE_SE
	ds_load_b128 v[20:23], v53
	ds_load_b128 v[12:15], v49 offset:144
	ds_load_b128 v[36:39], v49 offset:960
	;; [unrolled: 1-line block ×8, first 2 shown]
	s_and_saveexec_b32 s1, s0
	s_cbranch_execz .LBB0_20
; %bb.19:
	ds_load_b128 v[4:7], v49 offset:912
	ds_load_b128 v[0:3], v49 offset:432
	;; [unrolled: 1-line block ×3, first 2 shown]
.LBB0_20:
	s_wait_alu 0xfffe
	s_or_b32 exec_lo, exec_lo, s1
	v_and_b32_e32 v55, 0xff, v48
	v_add_nc_u16 v59, v48, 9
	v_add_nc_u16 v60, v48, 18
	s_mov_b32 s2, 0xe8584caa
	s_mov_b32 s3, 0xbfebb67a
	v_mul_lo_u16 v55, 0xab, v55
	v_and_b32_e32 v62, 0xff, v59
	v_and_b32_e32 v63, 0xff, v60
	s_mov_b32 s7, 0x3febb67a
	s_wait_alu 0xfffe
	s_mov_b32 s6, s2
	v_lshrrev_b16 v91, 9, v55
	v_mul_lo_u16 v62, 0xab, v62
	v_mul_lo_u16 v63, 0xab, v63
	s_delay_alu instid0(VALU_DEP_3) | instskip(NEXT) | instid1(VALU_DEP_3)
	v_mul_lo_u16 v55, v91, 3
	v_lshrrev_b16 v93, 9, v62
	s_delay_alu instid0(VALU_DEP_3) | instskip(NEXT) | instid1(VALU_DEP_3)
	v_lshrrev_b16 v94, 9, v63
	v_sub_nc_u16 v55, v48, v55
	s_delay_alu instid0(VALU_DEP_3) | instskip(NEXT) | instid1(VALU_DEP_3)
	v_mul_lo_u16 v62, v93, 3
	v_mul_lo_u16 v63, v94, 3
	s_delay_alu instid0(VALU_DEP_3) | instskip(NEXT) | instid1(VALU_DEP_3)
	v_and_b32_e32 v92, 0xff, v55
	v_sub_nc_u16 v59, v59, v62
	s_delay_alu instid0(VALU_DEP_3) | instskip(NEXT) | instid1(VALU_DEP_3)
	v_sub_nc_u16 v60, v60, v63
	v_lshlrev_b32_e32 v61, 5, v92
	s_delay_alu instid0(VALU_DEP_3) | instskip(NEXT) | instid1(VALU_DEP_3)
	v_and_b32_e32 v95, 0xff, v59
	v_and_b32_e32 v96, 0xff, v60
	global_load_b128 v[55:58], v61, s[4:5]
	v_lshlrev_b32_e32 v67, 5, v95
	global_load_b128 v[59:62], v61, s[4:5] offset:16
	v_lshlrev_b32_e32 v75, 5, v96
	s_clause 0x3
	global_load_b128 v[63:66], v67, s[4:5]
	global_load_b128 v[67:70], v67, s[4:5] offset:16
	global_load_b128 v[71:74], v75, s[4:5]
	global_load_b128 v[75:78], v75, s[4:5] offset:16
	global_wb scope:SCOPE_SE
	s_wait_loadcnt_dscnt 0x0
	s_barrier_signal -1
	s_barrier_wait -1
	global_inv scope:SCOPE_SE
	v_mul_f64_e32 v[79:80], v[46:47], v[57:58]
	v_mul_f64_e32 v[57:58], v[44:45], v[57:58]
	;; [unrolled: 1-line block ×11, first 2 shown]
	v_fma_f64 v[44:45], v[44:45], v[55:56], v[79:80]
	v_fma_f64 v[46:47], v[46:47], v[55:56], -v[57:58]
	v_mul_f64_e32 v[55:56], v[32:33], v[77:78]
	v_fma_f64 v[36:37], v[36:37], v[59:60], v[81:82]
	v_fma_f64 v[38:39], v[38:39], v[59:60], -v[61:62]
	v_fma_f64 v[40:41], v[40:41], v[63:64], v[83:84]
	v_fma_f64 v[24:25], v[24:25], v[67:68], v[85:86]
	v_fma_f64 v[42:43], v[42:43], v[63:64], -v[65:66]
	v_fma_f64 v[26:27], v[26:27], v[67:68], -v[69:70]
	v_fma_f64 v[28:29], v[28:29], v[71:72], v[87:88]
	v_fma_f64 v[32:33], v[32:33], v[75:76], v[89:90]
	v_fma_f64 v[30:31], v[30:31], v[71:72], -v[73:74]
	v_add_f64_e32 v[67:68], v[20:21], v[44:45]
	v_fma_f64 v[34:35], v[34:35], v[75:76], -v[55:56]
	v_add_f64_e32 v[55:56], v[44:45], v[36:37]
	v_add_f64_e32 v[57:58], v[46:47], v[38:39]
	v_add_f64_e64 v[69:70], v[46:47], -v[38:39]
	v_add_f64_e32 v[59:60], v[40:41], v[24:25]
	v_add_f64_e32 v[46:47], v[22:23], v[46:47]
	v_add_f64_e32 v[61:62], v[42:43], v[26:27]
	v_add_f64_e32 v[71:72], v[12:13], v[40:41]
	v_add_f64_e32 v[63:64], v[28:29], v[32:33]
	v_add_f64_e32 v[73:74], v[14:15], v[42:43]
	v_add_f64_e64 v[44:45], v[44:45], -v[36:37]
	v_add_f64_e32 v[75:76], v[16:17], v[28:29]
	v_add_f64_e32 v[77:78], v[18:19], v[30:31]
	v_add_f64_e64 v[42:43], v[42:43], -v[26:27]
	v_add_f64_e64 v[40:41], v[40:41], -v[24:25]
	;; [unrolled: 1-line block ×3, first 2 shown]
	v_add_f64_e32 v[65:66], v[30:31], v[34:35]
	v_fma_f64 v[55:56], v[55:56], -0.5, v[20:21]
	v_fma_f64 v[57:58], v[57:58], -0.5, v[22:23]
	v_add_f64_e64 v[79:80], v[30:31], -v[34:35]
	v_fma_f64 v[59:60], v[59:60], -0.5, v[12:13]
	v_add_f64_e32 v[12:13], v[67:68], v[36:37]
	v_fma_f64 v[61:62], v[61:62], -0.5, v[14:15]
	v_add_f64_e32 v[14:15], v[46:47], v[38:39]
	;; [unrolled: 2-line block ×3, first 2 shown]
	v_add_f64_e32 v[20:21], v[75:76], v[32:33]
	v_add_f64_e32 v[22:23], v[77:78], v[34:35]
	v_fma_f64 v[65:66], v[65:66], -0.5, v[18:19]
	v_add_f64_e32 v[18:19], v[73:74], v[26:27]
	v_fma_f64 v[24:25], v[69:70], s[2:3], v[55:56]
	s_wait_alu 0xfffe
	v_fma_f64 v[26:27], v[44:45], s[6:7], v[57:58]
	v_fma_f64 v[28:29], v[69:70], s[6:7], v[55:56]
	;; [unrolled: 1-line block ×9, first 2 shown]
	v_and_b32_e32 v55, 0xffff, v91
	v_and_b32_e32 v56, 0xffff, v93
	v_lshlrev_b32_e32 v58, 4, v92
	v_and_b32_e32 v57, 0xffff, v94
	v_lshlrev_b32_e32 v59, 4, v96
	v_mad_u32_u24 v55, 0x90, v55, 0
	v_mad_u32_u24 v56, 0x90, v56, 0
	s_delay_alu instid0(VALU_DEP_4) | instskip(NEXT) | instid1(VALU_DEP_3)
	v_mad_u32_u24 v57, 0x90, v57, 0
	v_add3_u32 v55, v55, v58, v54
	v_lshlrev_b32_e32 v58, 4, v95
	s_delay_alu instid0(VALU_DEP_3) | instskip(NEXT) | instid1(VALU_DEP_2)
	v_add3_u32 v57, v57, v59, v54
	v_add3_u32 v56, v56, v58, v54
	v_fma_f64 v[42:43], v[81:82], s[6:7], v[65:66]
	v_fma_f64 v[46:47], v[81:82], s[2:3], v[65:66]
	ds_store_b128 v55, v[12:15]
	ds_store_b128 v55, v[24:27] offset:48
	ds_store_b128 v55, v[28:31] offset:96
	ds_store_b128 v56, v[16:19]
	ds_store_b128 v56, v[32:35] offset:48
	ds_store_b128 v56, v[36:39] offset:96
	;; [unrolled: 3-line block ×3, first 2 shown]
	s_and_saveexec_b32 s1, s0
	s_cbranch_execz .LBB0_22
; %bb.21:
	v_add_nc_u16 v12, v48, 27
	s_delay_alu instid0(VALU_DEP_1) | instskip(NEXT) | instid1(VALU_DEP_1)
	v_and_b32_e32 v13, 0xff, v12
	v_mul_lo_u16 v13, 0xab, v13
	s_delay_alu instid0(VALU_DEP_1) | instskip(NEXT) | instid1(VALU_DEP_1)
	v_lshrrev_b16 v13, 9, v13
	v_mul_lo_u16 v13, v13, 3
	s_delay_alu instid0(VALU_DEP_1) | instskip(NEXT) | instid1(VALU_DEP_1)
	v_sub_nc_u16 v12, v12, v13
	v_and_b32_e32 v24, 0xff, v12
	s_delay_alu instid0(VALU_DEP_1)
	v_lshlrev_b32_e32 v16, 5, v24
	s_clause 0x1
	global_load_b128 v[12:15], v16, s[4:5]
	global_load_b128 v[16:19], v16, s[4:5] offset:16
	s_wait_loadcnt 0x1
	v_mul_f64_e32 v[20:21], v[4:5], v[14:15]
	s_wait_loadcnt 0x0
	v_mul_f64_e32 v[22:23], v[8:9], v[18:19]
	v_mul_f64_e32 v[14:15], v[6:7], v[14:15]
	;; [unrolled: 1-line block ×3, first 2 shown]
	s_delay_alu instid0(VALU_DEP_4) | instskip(NEXT) | instid1(VALU_DEP_4)
	v_fma_f64 v[6:7], v[6:7], v[12:13], -v[20:21]
	v_fma_f64 v[10:11], v[10:11], v[16:17], -v[22:23]
	s_delay_alu instid0(VALU_DEP_4) | instskip(NEXT) | instid1(VALU_DEP_4)
	v_fma_f64 v[4:5], v[4:5], v[12:13], v[14:15]
	v_fma_f64 v[8:9], v[8:9], v[16:17], v[18:19]
	s_delay_alu instid0(VALU_DEP_4) | instskip(NEXT) | instid1(VALU_DEP_4)
	v_add_f64_e32 v[18:19], v[2:3], v[6:7]
	v_add_f64_e32 v[12:13], v[6:7], v[10:11]
	v_add_f64_e64 v[20:21], v[6:7], -v[10:11]
	s_delay_alu instid0(VALU_DEP_4)
	v_add_f64_e32 v[14:15], v[4:5], v[8:9]
	v_add_f64_e64 v[16:17], v[4:5], -v[8:9]
	v_add_f64_e32 v[4:5], v[0:1], v[4:5]
	v_fma_f64 v[12:13], v[12:13], -0.5, v[2:3]
	v_add_f64_e32 v[2:3], v[18:19], v[10:11]
	v_fma_f64 v[14:15], v[14:15], -0.5, v[0:1]
	s_delay_alu instid0(VALU_DEP_4) | instskip(NEXT) | instid1(VALU_DEP_4)
	v_add_f64_e32 v[0:1], v[4:5], v[8:9]
	v_fma_f64 v[10:11], v[16:17], s[6:7], v[12:13]
	v_fma_f64 v[6:7], v[16:17], s[2:3], v[12:13]
	s_delay_alu instid0(VALU_DEP_4) | instskip(SKIP_2) | instid1(VALU_DEP_1)
	v_fma_f64 v[8:9], v[20:21], s[2:3], v[14:15]
	v_fma_f64 v[4:5], v[20:21], s[6:7], v[14:15]
	v_lshlrev_b32_e32 v12, 4, v24
	v_add3_u32 v12, 0, v12, v54
	ds_store_b128 v12, v[0:3] offset:1296
	ds_store_b128 v12, v[8:11] offset:1344
	;; [unrolled: 1-line block ×3, first 2 shown]
.LBB0_22:
	s_wait_alu 0xfffe
	s_or_b32 exec_lo, exec_lo, s1
	v_mul_u32_u24_e32 v0, 9, v48
	global_wb scope:SCOPE_SE
	s_wait_dscnt 0x0
	s_barrier_signal -1
	s_barrier_wait -1
	global_inv scope:SCOPE_SE
	v_lshlrev_b32_e32 v32, 4, v0
	s_mov_b32 s2, 0x134454ff
	s_mov_b32 s3, 0xbfee6f0e
	;; [unrolled: 1-line block ×3, first 2 shown]
	s_wait_alu 0xfffe
	s_mov_b32 s0, s2
	s_clause 0x8
	global_load_b128 v[0:3], v32, s[4:5] offset:128
	global_load_b128 v[4:7], v32, s[4:5] offset:160
	;; [unrolled: 1-line block ×9, first 2 shown]
	ds_load_b128 v[36:39], v49 offset:432
	ds_load_b128 v[40:43], v49 offset:720
	;; [unrolled: 1-line block ×9, first 2 shown]
	ds_load_b128 v[78:81], v53
	s_mov_b32 s6, 0x4755a5e
	s_mov_b32 s7, 0xbfe2cf23
	;; [unrolled: 1-line block ×3, first 2 shown]
	s_wait_alu 0xfffe
	s_mov_b32 s4, s6
	s_mov_b32 s10, 0x372fe950
	;; [unrolled: 1-line block ×9, first 2 shown]
	global_wb scope:SCOPE_SE
	s_wait_loadcnt_dscnt 0x0
	s_barrier_signal -1
	s_barrier_wait -1
	global_inv scope:SCOPE_SE
	v_mul_f64_e32 v[82:83], v[36:37], v[2:3]
	v_mul_f64_e32 v[84:85], v[40:41], v[6:7]
	;; [unrolled: 1-line block ×10, first 2 shown]
	v_fma_f64 v[38:39], v[38:39], v[0:1], -v[82:83]
	v_fma_f64 v[42:43], v[42:43], v[4:5], -v[84:85]
	;; [unrolled: 1-line block ×4, first 2 shown]
	v_mul_f64_e32 v[82:83], v[60:61], v[22:23]
	v_mul_f64_e32 v[22:23], v[58:59], v[22:23]
	;; [unrolled: 1-line block ×8, first 2 shown]
	v_fma_f64 v[4:5], v[40:41], v[4:5], v[6:7]
	v_fma_f64 v[6:7], v[44:45], v[8:9], v[10:11]
	;; [unrolled: 1-line block ×4, first 2 shown]
	v_fma_f64 v[8:9], v[76:77], v[16:17], -v[90:91]
	v_fma_f64 v[16:17], v[74:75], v[16:17], v[18:19]
	v_add_f64_e32 v[10:11], v[42:43], v[46:47]
	v_add_f64_e32 v[12:13], v[38:39], v[56:57]
	v_fma_f64 v[14:15], v[58:59], v[20:21], v[82:83]
	v_fma_f64 v[20:21], v[60:61], v[20:21], -v[22:23]
	v_fma_f64 v[22:23], v[62:63], v[24:25], v[84:85]
	v_fma_f64 v[36:37], v[66:67], v[28:29], v[86:87]
	v_fma_f64 v[24:25], v[64:65], v[24:25], -v[26:27]
	v_fma_f64 v[26:27], v[70:71], v[32:33], v[88:89]
	v_fma_f64 v[28:29], v[68:69], v[28:29], -v[30:31]
	v_fma_f64 v[30:31], v[72:73], v[32:33], -v[34:35]
	v_add_f64_e64 v[62:63], v[38:39], -v[42:43]
	v_add_f64_e32 v[18:19], v[4:5], v[6:7]
	v_add_f64_e64 v[32:33], v[4:5], -v[6:7]
	v_add_f64_e32 v[34:35], v[0:1], v[2:3]
	v_add_f64_e64 v[40:41], v[0:1], -v[2:3]
	v_add_f64_e64 v[64:65], v[56:57], -v[46:47]
	;; [unrolled: 1-line block ×8, first 2 shown]
	v_fma_f64 v[10:11], v[10:11], -0.5, v[8:9]
	v_fma_f64 v[12:13], v[12:13], -0.5, v[8:9]
	v_add_f64_e32 v[88:89], v[78:79], v[14:15]
	v_add_f64_e32 v[82:83], v[80:81], v[20:21]
	;; [unrolled: 1-line block ×4, first 2 shown]
	v_add_f64_e64 v[38:39], v[6:7], -v[2:3]
	v_add_f64_e32 v[53:54], v[14:15], v[26:27]
	v_add_f64_e32 v[58:59], v[24:25], v[28:29]
	;; [unrolled: 1-line block ×3, first 2 shown]
	v_add_f64_e64 v[90:91], v[20:21], -v[30:31]
	v_fma_f64 v[18:19], v[18:19], -0.5, v[16:17]
	v_add_f64_e64 v[92:93], v[24:25], -v[28:29]
	v_fma_f64 v[34:35], v[34:35], -0.5, v[16:17]
	v_add_f64_e32 v[16:17], v[16:17], v[0:1]
	v_add_f64_e64 v[0:1], v[4:5], -v[0:1]
	v_add_f64_e64 v[94:95], v[14:15], -v[26:27]
	v_add_f64_e32 v[62:63], v[62:63], v[64:65]
	v_add_f64_e32 v[64:65], v[66:67], v[68:69]
	v_add_f64_e64 v[96:97], v[36:37], -v[26:27]
	v_add_f64_e64 v[98:99], v[30:31], -v[28:29]
	;; [unrolled: 1-line block ×3, first 2 shown]
	v_fma_f64 v[74:75], v[40:41], s[0:1], v[10:11]
	v_fma_f64 v[76:77], v[32:33], s[2:3], v[12:13]
	;; [unrolled: 1-line block ×4, first 2 shown]
	v_add_f64_e32 v[8:9], v[8:9], v[42:43]
	v_fma_f64 v[44:45], v[44:45], -0.5, v[78:79]
	v_fma_f64 v[53:54], v[53:54], -0.5, v[78:79]
	;; [unrolled: 1-line block ×3, first 2 shown]
	v_add_f64_e64 v[78:79], v[22:23], -v[36:37]
	v_fma_f64 v[60:61], v[60:61], -0.5, v[80:81]
	v_fma_f64 v[66:67], v[70:71], s[2:3], v[18:19]
	v_fma_f64 v[18:19], v[70:71], s[0:1], v[18:19]
	;; [unrolled: 1-line block ×4, first 2 shown]
	v_add_f64_e32 v[4:5], v[16:17], v[4:5]
	v_add_f64_e32 v[16:17], v[82:83], v[24:25]
	v_add_f64_e64 v[80:81], v[20:21], -v[24:25]
	v_add_f64_e64 v[20:21], v[24:25], -v[20:21]
	v_add_f64_e32 v[24:25], v[84:85], v[86:87]
	v_add_f64_e32 v[0:1], v[0:1], v[38:39]
	s_wait_alu 0xfffe
	v_fma_f64 v[74:75], v[32:33], s[4:5], v[74:75]
	v_fma_f64 v[76:77], v[40:41], s[4:5], v[76:77]
	;; [unrolled: 1-line block ×4, first 2 shown]
	v_add_f64_e64 v[32:33], v[14:15], -v[22:23]
	v_add_f64_e64 v[14:15], v[22:23], -v[14:15]
	v_add_f64_e32 v[22:23], v[88:89], v[22:23]
	v_add_f64_e64 v[40:41], v[26:27], -v[36:37]
	v_fma_f64 v[38:39], v[90:91], s[2:3], v[44:45]
	v_fma_f64 v[42:43], v[90:91], s[0:1], v[44:45]
	;; [unrolled: 1-line block ×12, first 2 shown]
	v_add_f64_e32 v[16:17], v[16:17], v[28:29]
	v_add_f64_e32 v[4:5], v[4:5], v[6:7]
	;; [unrolled: 1-line block ×4, first 2 shown]
	v_fma_f64 v[70:71], v[62:63], s[10:11], v[74:75]
	v_fma_f64 v[72:73], v[64:65], s[10:11], v[76:77]
	;; [unrolled: 1-line block ×4, first 2 shown]
	v_add_f64_e32 v[14:15], v[14:15], v[96:97]
	v_add_f64_e32 v[22:23], v[22:23], v[36:37]
	;; [unrolled: 1-line block ×4, first 2 shown]
	v_fma_f64 v[8:9], v[92:93], s[6:7], v[38:39]
	v_fma_f64 v[28:29], v[92:93], s[4:5], v[42:43]
	;; [unrolled: 1-line block ×12, first 2 shown]
	v_add_f64_e32 v[16:17], v[16:17], v[30:31]
	v_add_f64_e32 v[4:5], v[4:5], v[2:3]
	;; [unrolled: 1-line block ×3, first 2 shown]
	v_mul_f64_e32 v[34:35], s[6:7], v[70:71]
	v_mul_f64_e32 v[66:67], s[12:13], v[70:71]
	;; [unrolled: 1-line block ×8, first 2 shown]
	v_add_f64_e32 v[22:23], v[22:23], v[26:27]
	v_fma_f64 v[26:27], v[32:33], s[10:11], v[8:9]
	v_fma_f64 v[30:31], v[32:33], s[10:11], v[28:29]
	;; [unrolled: 1-line block ×8, first 2 shown]
	v_add_f64_e32 v[2:3], v[16:17], v[6:7]
	v_add_f64_e64 v[6:7], v[16:17], -v[6:7]
	v_fma_f64 v[34:35], v[58:59], s[12:13], v[34:35]
	v_fma_f64 v[55:56], v[58:59], s[4:5], v[66:67]
	;; [unrolled: 1-line block ×8, first 2 shown]
	v_add_f64_e32 v[0:1], v[22:23], v[4:5]
	v_add_f64_e64 v[4:5], v[22:23], -v[4:5]
	v_add_f64_e32 v[8:9], v[26:27], v[34:35]
	v_add_f64_e32 v[10:11], v[38:39], v[55:56]
	;; [unrolled: 1-line block ×8, first 2 shown]
	v_add_f64_e64 v[24:25], v[26:27], -v[34:35]
	v_add_f64_e64 v[26:27], v[38:39], -v[55:56]
	;; [unrolled: 1-line block ×8, first 2 shown]
	ds_store_b128 v49, v[0:3]
	ds_store_b128 v49, v[8:11] offset:144
	ds_store_b128 v49, v[12:15] offset:288
	;; [unrolled: 1-line block ×9, first 2 shown]
	global_wb scope:SCOPE_SE
	s_wait_dscnt 0x0
	s_barrier_signal -1
	s_barrier_wait -1
	global_inv scope:SCOPE_SE
	s_and_saveexec_b32 s0, vcc_lo
	s_cbranch_execz .LBB0_24
; %bb.23:
	v_dual_mov_b32 v49, 0 :: v_dual_add_nc_u32 v8, 9, v48
	v_add_co_u32 v36, vcc_lo, s8, v50
	v_lshl_add_u32 v34, v48, 4, v52
	s_delay_alu instid0(VALU_DEP_3) | instskip(SKIP_4) | instid1(VALU_DEP_4)
	v_lshlrev_b64_e32 v[0:1], 4, v[48:49]
	s_wait_alu 0xfffd
	v_add_co_ci_u32_e32 v37, vcc_lo, s9, v51, vcc_lo
	v_dual_mov_b32 v9, v49 :: v_dual_add_nc_u32 v10, 18, v48
	v_dual_mov_b32 v11, v49 :: v_dual_add_nc_u32 v22, 27, v48
	v_add_co_u32 v16, vcc_lo, v36, v0
	s_wait_alu 0xfffd
	v_add_co_ci_u32_e32 v17, vcc_lo, v37, v1, vcc_lo
	ds_load_b128 v[0:3], v34
	ds_load_b128 v[4:7], v34 offset:144
	v_lshlrev_b64_e32 v[18:19], 4, v[8:9]
	v_lshlrev_b64_e32 v[20:21], 4, v[10:11]
	ds_load_b128 v[8:11], v34 offset:288
	ds_load_b128 v[12:15], v34 offset:432
	v_dual_mov_b32 v23, v49 :: v_dual_add_nc_u32 v24, 36, v48
	v_mov_b32_e32 v25, v49
	v_add_co_u32 v18, vcc_lo, v36, v18
	s_delay_alu instid0(VALU_DEP_3)
	v_lshlrev_b64_e32 v[22:23], 4, v[22:23]
	s_wait_alu 0xfffd
	v_add_co_ci_u32_e32 v19, vcc_lo, v37, v19, vcc_lo
	v_add_co_u32 v20, vcc_lo, v36, v20
	s_wait_alu 0xfffd
	v_add_co_ci_u32_e32 v21, vcc_lo, v37, v21, vcc_lo
	v_add_co_u32 v22, vcc_lo, v36, v22
	s_wait_dscnt 0x3
	global_store_b128 v[16:17], v[0:3], off
	s_wait_dscnt 0x2
	global_store_b128 v[18:19], v[4:7], off
	v_dual_mov_b32 v3, v49 :: v_dual_add_nc_u32 v2, 45, v48
	s_wait_alu 0xfffd
	v_add_co_ci_u32_e32 v23, vcc_lo, v37, v23, vcc_lo
	v_lshlrev_b64_e32 v[0:1], 4, v[24:25]
	s_wait_dscnt 0x1
	global_store_b128 v[20:21], v[8:11], off
	s_wait_dscnt 0x0
	global_store_b128 v[22:23], v[12:15], off
	v_add_nc_u32_e32 v10, 54, v48
	v_lshlrev_b64_e32 v[8:9], 4, v[2:3]
	v_dual_mov_b32 v11, v49 :: v_dual_add_nc_u32 v16, 63, v48
	v_add_co_u32 v24, vcc_lo, v36, v0
	s_wait_alu 0xfffd
	v_add_co_ci_u32_e32 v25, vcc_lo, v37, v1, vcc_lo
	s_delay_alu instid0(VALU_DEP_4)
	v_add_co_u32 v26, vcc_lo, v36, v8
	s_wait_alu 0xfffd
	v_add_co_ci_u32_e32 v27, vcc_lo, v37, v9, vcc_lo
	v_lshlrev_b64_e32 v[8:9], 4, v[10:11]
	v_dual_mov_b32 v17, v49 :: v_dual_add_nc_u32 v18, 0x48, v48
	v_dual_mov_b32 v19, v49 :: v_dual_add_nc_u32 v48, 0x51, v48
	ds_load_b128 v[0:3], v34 offset:576
	ds_load_b128 v[4:7], v34 offset:720
	v_add_co_u32 v28, vcc_lo, v36, v8
	s_wait_alu 0xfffd
	v_add_co_ci_u32_e32 v29, vcc_lo, v37, v9, vcc_lo
	ds_load_b128 v[8:11], v34 offset:864
	ds_load_b128 v[12:15], v34 offset:1008
	v_lshlrev_b64_e32 v[30:31], 4, v[16:17]
	v_lshlrev_b64_e32 v[32:33], 4, v[18:19]
	ds_load_b128 v[16:19], v34 offset:1152
	ds_load_b128 v[20:23], v34 offset:1296
	v_lshlrev_b64_e32 v[34:35], 4, v[48:49]
	v_add_co_u32 v30, vcc_lo, v36, v30
	s_wait_alu 0xfffd
	v_add_co_ci_u32_e32 v31, vcc_lo, v37, v31, vcc_lo
	v_add_co_u32 v32, vcc_lo, v36, v32
	s_wait_alu 0xfffd
	v_add_co_ci_u32_e32 v33, vcc_lo, v37, v33, vcc_lo
	v_add_co_u32 v34, vcc_lo, v36, v34
	s_wait_alu 0xfffd
	v_add_co_ci_u32_e32 v35, vcc_lo, v37, v35, vcc_lo
	s_wait_dscnt 0x5
	global_store_b128 v[24:25], v[0:3], off
	s_wait_dscnt 0x4
	global_store_b128 v[26:27], v[4:7], off
	;; [unrolled: 2-line block ×6, first 2 shown]
.LBB0_24:
	s_nop 0
	s_sendmsg sendmsg(MSG_DEALLOC_VGPRS)
	s_endpgm
	.section	.rodata,"a",@progbits
	.p2align	6, 0x0
	.amdhsa_kernel fft_rtc_back_len90_factors_3_3_10_wgs_63_tpt_9_halfLds_dp_ip_CI_unitstride_sbrr_C2R_dirReg
		.amdhsa_group_segment_fixed_size 0
		.amdhsa_private_segment_fixed_size 0
		.amdhsa_kernarg_size 88
		.amdhsa_user_sgpr_count 2
		.amdhsa_user_sgpr_dispatch_ptr 0
		.amdhsa_user_sgpr_queue_ptr 0
		.amdhsa_user_sgpr_kernarg_segment_ptr 1
		.amdhsa_user_sgpr_dispatch_id 0
		.amdhsa_user_sgpr_private_segment_size 0
		.amdhsa_wavefront_size32 1
		.amdhsa_uses_dynamic_stack 0
		.amdhsa_enable_private_segment 0
		.amdhsa_system_sgpr_workgroup_id_x 1
		.amdhsa_system_sgpr_workgroup_id_y 0
		.amdhsa_system_sgpr_workgroup_id_z 0
		.amdhsa_system_sgpr_workgroup_info 0
		.amdhsa_system_vgpr_workitem_id 0
		.amdhsa_next_free_vgpr 102
		.amdhsa_next_free_sgpr 32
		.amdhsa_reserve_vcc 1
		.amdhsa_float_round_mode_32 0
		.amdhsa_float_round_mode_16_64 0
		.amdhsa_float_denorm_mode_32 3
		.amdhsa_float_denorm_mode_16_64 3
		.amdhsa_fp16_overflow 0
		.amdhsa_workgroup_processor_mode 1
		.amdhsa_memory_ordered 1
		.amdhsa_forward_progress 0
		.amdhsa_round_robin_scheduling 0
		.amdhsa_exception_fp_ieee_invalid_op 0
		.amdhsa_exception_fp_denorm_src 0
		.amdhsa_exception_fp_ieee_div_zero 0
		.amdhsa_exception_fp_ieee_overflow 0
		.amdhsa_exception_fp_ieee_underflow 0
		.amdhsa_exception_fp_ieee_inexact 0
		.amdhsa_exception_int_div_zero 0
	.end_amdhsa_kernel
	.text
.Lfunc_end0:
	.size	fft_rtc_back_len90_factors_3_3_10_wgs_63_tpt_9_halfLds_dp_ip_CI_unitstride_sbrr_C2R_dirReg, .Lfunc_end0-fft_rtc_back_len90_factors_3_3_10_wgs_63_tpt_9_halfLds_dp_ip_CI_unitstride_sbrr_C2R_dirReg
                                        ; -- End function
	.section	.AMDGPU.csdata,"",@progbits
; Kernel info:
; codeLenInByte = 7200
; NumSgprs: 34
; NumVgprs: 102
; ScratchSize: 0
; MemoryBound: 0
; FloatMode: 240
; IeeeMode: 1
; LDSByteSize: 0 bytes/workgroup (compile time only)
; SGPRBlocks: 4
; VGPRBlocks: 12
; NumSGPRsForWavesPerEU: 34
; NumVGPRsForWavesPerEU: 102
; Occupancy: 12
; WaveLimiterHint : 1
; COMPUTE_PGM_RSRC2:SCRATCH_EN: 0
; COMPUTE_PGM_RSRC2:USER_SGPR: 2
; COMPUTE_PGM_RSRC2:TRAP_HANDLER: 0
; COMPUTE_PGM_RSRC2:TGID_X_EN: 1
; COMPUTE_PGM_RSRC2:TGID_Y_EN: 0
; COMPUTE_PGM_RSRC2:TGID_Z_EN: 0
; COMPUTE_PGM_RSRC2:TIDIG_COMP_CNT: 0
	.text
	.p2alignl 7, 3214868480
	.fill 96, 4, 3214868480
	.type	__hip_cuid_fca6996ec81f1369,@object ; @__hip_cuid_fca6996ec81f1369
	.section	.bss,"aw",@nobits
	.globl	__hip_cuid_fca6996ec81f1369
__hip_cuid_fca6996ec81f1369:
	.byte	0                               ; 0x0
	.size	__hip_cuid_fca6996ec81f1369, 1

	.ident	"AMD clang version 19.0.0git (https://github.com/RadeonOpenCompute/llvm-project roc-6.4.0 25133 c7fe45cf4b819c5991fe208aaa96edf142730f1d)"
	.section	".note.GNU-stack","",@progbits
	.addrsig
	.addrsig_sym __hip_cuid_fca6996ec81f1369
	.amdgpu_metadata
---
amdhsa.kernels:
  - .args:
      - .actual_access:  read_only
        .address_space:  global
        .offset:         0
        .size:           8
        .value_kind:     global_buffer
      - .offset:         8
        .size:           8
        .value_kind:     by_value
      - .actual_access:  read_only
        .address_space:  global
        .offset:         16
        .size:           8
        .value_kind:     global_buffer
      - .actual_access:  read_only
        .address_space:  global
        .offset:         24
        .size:           8
        .value_kind:     global_buffer
      - .offset:         32
        .size:           8
        .value_kind:     by_value
      - .actual_access:  read_only
        .address_space:  global
        .offset:         40
        .size:           8
        .value_kind:     global_buffer
      - .actual_access:  read_only
        .address_space:  global
        .offset:         48
        .size:           8
        .value_kind:     global_buffer
      - .offset:         56
        .size:           4
        .value_kind:     by_value
      - .actual_access:  read_only
        .address_space:  global
        .offset:         64
        .size:           8
        .value_kind:     global_buffer
      - .actual_access:  read_only
        .address_space:  global
        .offset:         72
        .size:           8
        .value_kind:     global_buffer
      - .address_space:  global
        .offset:         80
        .size:           8
        .value_kind:     global_buffer
    .group_segment_fixed_size: 0
    .kernarg_segment_align: 8
    .kernarg_segment_size: 88
    .language:       OpenCL C
    .language_version:
      - 2
      - 0
    .max_flat_workgroup_size: 63
    .name:           fft_rtc_back_len90_factors_3_3_10_wgs_63_tpt_9_halfLds_dp_ip_CI_unitstride_sbrr_C2R_dirReg
    .private_segment_fixed_size: 0
    .sgpr_count:     34
    .sgpr_spill_count: 0
    .symbol:         fft_rtc_back_len90_factors_3_3_10_wgs_63_tpt_9_halfLds_dp_ip_CI_unitstride_sbrr_C2R_dirReg.kd
    .uniform_work_group_size: 1
    .uses_dynamic_stack: false
    .vgpr_count:     102
    .vgpr_spill_count: 0
    .wavefront_size: 32
    .workgroup_processor_mode: 1
amdhsa.target:   amdgcn-amd-amdhsa--gfx1201
amdhsa.version:
  - 1
  - 2
...

	.end_amdgpu_metadata
